;; amdgpu-corpus repo=zjin-lcf/HeCBench kind=compiled arch=gfx906 opt=O3
	.amdgcn_target "amdgcn-amd-amdhsa--gfx906"
	.amdhsa_code_object_version 6
	.text
	.protected	_Z11EstepKernelPKiS0_PKbPKfbiiiiS4_S4_PfS5_S5_S5_S5_Pi ; -- Begin function _Z11EstepKernelPKiS0_PKbPKfbiiiiS4_S4_PfS5_S5_S5_S5_Pi
	.globl	_Z11EstepKernelPKiS0_PKbPKfbiiiiS4_S4_PfS5_S5_S5_S5_Pi
	.p2align	8
	.type	_Z11EstepKernelPKiS0_PKbPKfbiiiiS4_S4_PfS5_S5_S5_S5_Pi,@function
_Z11EstepKernelPKiS0_PKbPKfbiiiiS4_S4_PfS5_S5_S5_S5_Pi: ; @_Z11EstepKernelPKiS0_PKbPKfbiiiiS4_S4_PfS5_S5_S5_S5_Pi
; %bb.0:
	s_load_dwordx4 s[28:31], s[4:5], 0x28
	s_waitcnt lgkmcnt(0)
	s_cmp_ge_i32 s6, s28
	s_cbranch_scc1 .LBB0_129
; %bb.1:
	s_load_dword s0, s[4:5], 0x20
	s_load_dwordx8 s[20:27], s[4:5], 0x58
	s_load_dwordx8 s[36:43], s[4:5], 0x38
	s_mul_i32 s10, s29, s6
	s_mov_b32 s11, 0
	s_waitcnt lgkmcnt(0)
	s_bitcmp1_b32 s0, 0
	s_cselect_b64 s[12:13], -1, 0
	s_lshl_b32 s31, s29, 2
	s_add_i32 s33, s31, 0x80
	s_add_i32 s68, s33, s31
	;; [unrolled: 1-line block ×3, first 2 shown]
	s_lshl_b64 s[0:1], s[10:11], 2
	s_add_u32 s69, s42, s0
	s_addc_u32 s70, s43, s1
	s_cmp_gt_i32 s30, 0
	v_and_b32_e32 v1, 31, v0
	s_mov_b32 s7, s11
	s_cselect_b64 s[34:35], -1, 0
	v_cmp_eq_u32_e64 s[2:3], 0, v1
	v_lshlrev_b32_e32 v7, 2, v1
	s_lshl_b64 s[10:11], s[6:7], 2
	v_mbcnt_lo_u32_b32 v1, -1, 0
	s_load_dword s71, s[4:5], 0x78
	s_load_dword s7, s[4:5], 0x84
	v_lshrrev_b32_e32 v2, 3, v0
	v_mbcnt_hi_u32_b32 v1, -1, v1
	v_and_b32_e32 v6, 0x7c, v2
	s_add_u32 s22, s22, s10
	v_and_b32_e32 v2, 63, v1
	s_addc_u32 s23, s23, s11
	v_cmp_gt_u32_e32 vcc, 48, v2
	s_add_u32 s24, s24, s10
	v_cndmask_b32_e64 v3, 0, 16, vcc
	v_cmp_gt_u32_e32 vcc, 56, v2
	s_addc_u32 s25, s25, s11
	v_add_lshl_u32 v8, v3, v1, 2
	v_cndmask_b32_e64 v3, 0, 8, vcc
	v_cmp_gt_u32_e32 vcc, 60, v2
	s_waitcnt lgkmcnt(0)
	s_and_b32 s72, s7, 0xffff
	v_add_lshl_u32 v9, v3, v1, 2
	v_cndmask_b32_e64 v3, 0, 4, vcc
	v_cmp_gt_u32_e32 vcc, 62, v2
	s_cmp_gt_u32 s72, 32
	v_add_lshl_u32 v10, v3, v1, 2
	v_cndmask_b32_e64 v3, 0, 2, vcc
	s_cselect_b64 s[42:43], -1, 0
	s_abs_i32 s73, s29
	v_add_lshl_u32 v11, v3, v1, 2
	v_cvt_f32_u32_e32 v3, s73
	v_cmp_ne_u32_e32 vcc, 63, v2
	v_addc_co_u32_e32 v1, vcc, 0, v1, vcc
	v_rcp_iflag_f32_e32 v2, v3
	v_lshlrev_b32_e32 v12, 2, v1
	v_cmp_gt_i32_e64 s[0:1], s29, v0
	s_bfe_u32 s7, s7, 0xb0005
	v_mul_f32_e32 v1, 0x4f7ffffe, v2
	v_cvt_u32_f32_e32 v1, v1
	v_cmp_gt_u32_e64 s[10:11], s7, v0
	s_and_b64 s[52:53], s[0:1], s[12:13]
	s_sub_i32 s7, 0, s73
	v_readfirstlane_b32 s12, v1
	s_mul_i32 s7, s7, s12
	s_mul_hi_u32 s7, s12, s7
	s_load_dwordx8 s[44:51], s[4:5], 0x0
	s_add_i32 s75, s12, s7
	s_mul_i32 s7, s29, 12
	v_lshlrev_b32_e32 v13, 2, v0
	s_addk_i32 s7, 0x80
	s_lshl_b32 s77, s29, 3
	v_add_u32_e32 v14, s7, v13
	s_add_i32 s7, s77, 0x80
	v_cmp_gt_u32_e64 s[16:17], 32, v0
	v_cmp_eq_u32_e64 s[8:9], 0, v0
	s_ashr_i32 s74, s29, 31
	s_lshl_b32 s76, s72, 2
	v_add_u32_e32 v15, 0x80, v13
	v_add_u32_e32 v16, s33, v13
	;; [unrolled: 1-line block ×3, first 2 shown]
	v_mov_b32_e32 v2, 0
	s_mov_b32 s78, 0x40e00000
	s_mov_b32 s79, 0x800000
	;; [unrolled: 1-line block ×6, first 2 shown]
	v_mov_b32_e32 v18, 0x41b17218
	v_mov_b32_e32 v19, 0x7f800000
	;; [unrolled: 1-line block ×3, first 2 shown]
	s_mov_b32 s84, 0x42b17218
	s_branch .LBB0_3
.LBB0_2:                                ;   in Loop: Header=BB0_3 Depth=1
	s_or_b64 exec, exec, s[4:5]
	s_add_i32 s6, s71, s6
	s_cmp_ge_i32 s6, s28
	s_waitcnt vmcnt(0)
	s_barrier
	s_cbranch_scc1 .LBB0_129
.LBB0_3:                                ; =>This Loop Header: Depth=1
                                        ;     Child Loop BB0_5 Depth 2
                                        ;     Child Loop BB0_8 Depth 2
	;; [unrolled: 1-line block ×3, first 2 shown]
                                        ;       Child Loop BB0_14 Depth 3
                                        ;       Child Loop BB0_19 Depth 3
                                        ;         Child Loop BB0_23 Depth 4
                                        ;           Child Loop BB0_25 Depth 5
                                        ;         Child Loop BB0_29 Depth 4
                                        ;         Child Loop BB0_42 Depth 4
	;; [unrolled: 1-line block ×6, first 2 shown]
                                        ;       Child Loop BB0_78 Depth 3
                                        ;     Child Loop BB0_81 Depth 2
                                        ;     Child Loop BB0_95 Depth 2
                                        ;       Child Loop BB0_97 Depth 3
                                        ;       Child Loop BB0_101 Depth 3
                                        ;     Child Loop BB0_103 Depth 2
                                        ;     Child Loop BB0_116 Depth 2
	s_ashr_i32 s7, s6, 31
	s_lshl_b64 s[4:5], s[6:7], 2
	s_waitcnt lgkmcnt(0)
	s_add_u32 s4, s46, s4
	s_addc_u32 s5, s47, s5
	s_load_dwordx2 s[12:13], s[4:5], 0x0
	s_mul_i32 s4, s6, s29
	s_ashr_i32 s5, s4, 31
	s_lshl_b64 s[4:5], s[4:5], 2
	s_add_u32 s7, s40, s4
	s_addc_u32 s85, s41, s5
	s_and_saveexec_b64 s[14:15], s[52:53]
	s_cbranch_execz .LBB0_6
; %bb.4:                                ;   in Loop: Header=BB0_3 Depth=1
	s_waitcnt lgkmcnt(0)
	s_sub_i32 s4, s13, s12
	s_ashr_i32 s5, s4, 31
	s_abs_i32 s4, s4
	s_mul_hi_u32 s18, s4, s75
	s_mul_i32 s19, s18, s73
	s_sub_i32 s4, s4, s19
	s_xor_b32 s5, s5, s74
	s_add_i32 s19, s18, 1
	s_sub_i32 s54, s4, s73
	s_cmp_ge_u32 s4, s73
	s_cselect_b32 s18, s19, s18
	s_cselect_b32 s4, s54, s4
	s_add_i32 s19, s18, 1
	s_cmp_ge_u32 s4, s73
	s_cselect_b32 s4, s19, s18
	s_xor_b32 s4, s4, s5
	s_sub_i32 s4, s4, s5
	v_cvt_f32_i32_e32 v5, s4
	s_mov_b64 s[18:19], 0
	v_mov_b32_e32 v3, v0
.LBB0_5:                                ;   Parent Loop BB0_3 Depth=1
                                        ; =>  This Inner Loop Header: Depth=2
	v_ashrrev_i32_e32 v4, 31, v3
	v_lshlrev_b64 v[20:21], 2, v[3:4]
	v_mov_b32_e32 v4, s37
	v_add_co_u32_e32 v22, vcc, s36, v20
	v_addc_co_u32_e32 v23, vcc, v4, v21, vcc
	global_load_dword v4, v[22:23], off
	v_add_u32_e32 v3, s72, v3
	v_mov_b32_e32 v22, s85
	v_cmp_le_i32_e32 vcc, s29, v3
	v_add_co_u32_e64 v20, s[4:5], s7, v20
	v_addc_co_u32_e64 v21, s[4:5], v22, v21, s[4:5]
	s_or_b64 s[18:19], vcc, s[18:19]
	s_waitcnt vmcnt(0)
	v_add_f32_e32 v4, v4, v5
	global_store_dword v[20:21], v4, off
	s_andn2_b64 exec, exec, s[18:19]
	s_cbranch_execnz .LBB0_5
.LBB0_6:                                ;   in Loop: Header=BB0_3 Depth=1
	s_or_b64 exec, exec, s[14:15]
	s_waitcnt vmcnt(0) lgkmcnt(0)
	s_barrier
	s_and_saveexec_b64 s[4:5], s[0:1]
	s_cbranch_execz .LBB0_9
; %bb.7:                                ;   in Loop: Header=BB0_3 Depth=1
	s_mov_b64 s[14:15], 0
	v_mov_b32_e32 v3, v14
	v_mov_b32_e32 v4, v0
.LBB0_8:                                ;   Parent Loop BB0_3 Depth=1
                                        ; =>  This Inner Loop Header: Depth=2
	v_add_u32_e32 v4, s72, v4
	v_cmp_le_i32_e32 vcc, s29, v4
	ds_write_b32 v3, v2
	s_or_b64 s[14:15], vcc, s[14:15]
	v_add_u32_e32 v3, s76, v3
	s_andn2_b64 exec, exec, s[14:15]
	s_cbranch_execnz .LBB0_8
.LBB0_9:                                ;   in Loop: Header=BB0_3 Depth=1
	s_or_b64 exec, exec, s[4:5]
	s_andn2_b64 vcc, exec, s[34:35]
	s_cbranch_vccnz .LBB0_79
; %bb.10:                               ;   in Loop: Header=BB0_3 Depth=1
	s_cmp_gt_i32 s13, s12
	s_mov_b32 s86, 0
	s_cselect_b64 s[14:15], -1, 0
	s_branch .LBB0_12
.LBB0_11:                               ;   in Loop: Header=BB0_12 Depth=2
	s_or_b64 exec, exec, s[18:19]
	s_add_i32 s86, s86, 1
	s_cmp_eq_u32 s86, s30
	s_waitcnt vmcnt(0)
	s_barrier
	s_cbranch_scc1 .LBB0_79
.LBB0_12:                               ;   Parent Loop BB0_3 Depth=1
                                        ; =>  This Loop Header: Depth=2
                                        ;       Child Loop BB0_14 Depth 3
                                        ;       Child Loop BB0_19 Depth 3
                                        ;         Child Loop BB0_23 Depth 4
                                        ;           Child Loop BB0_25 Depth 5
                                        ;         Child Loop BB0_29 Depth 4
                                        ;         Child Loop BB0_42 Depth 4
	;; [unrolled: 1-line block ×6, first 2 shown]
                                        ;       Child Loop BB0_78 Depth 3
	s_and_saveexec_b64 s[4:5], s[0:1]
	s_cbranch_execz .LBB0_15
; %bb.13:                               ;   in Loop: Header=BB0_12 Depth=2
	s_mov_b64 s[18:19], 0
	v_mov_b32_e32 v3, v15
	v_mov_b32_e32 v4, v0
.LBB0_14:                               ;   Parent Loop BB0_3 Depth=1
                                        ;     Parent Loop BB0_12 Depth=2
                                        ; =>    This Inner Loop Header: Depth=3
	v_add_u32_e32 v4, s72, v4
	v_cmp_le_i32_e32 vcc, s29, v4
	ds_write_b32 v3, v2
	s_or_b64 s[18:19], vcc, s[18:19]
	v_add_u32_e32 v3, s76, v3
	s_andn2_b64 exec, exec, s[18:19]
	s_cbranch_execnz .LBB0_14
.LBB0_15:                               ;   in Loop: Header=BB0_12 Depth=2
	s_or_b64 exec, exec, s[4:5]
	s_andn2_b64 vcc, exec, s[14:15]
	s_waitcnt lgkmcnt(0)
	s_barrier
	s_cbranch_vccnz .LBB0_76
; %bb.16:                               ;   in Loop: Header=BB0_12 Depth=2
	s_add_i32 s4, s86, 1
	s_cmp_lg_u32 s4, s30
	s_cselect_b64 s[18:19], -1, 0
	s_cmp_eq_u32 s4, s30
	s_cselect_b64 s[54:55], -1, 0
	s_mov_b32 s56, s12
	s_branch .LBB0_19
.LBB0_17:                               ;   in Loop: Header=BB0_19 Depth=3
	s_or_b64 exec, exec, s[58:59]
	s_waitcnt vmcnt(0)
	s_barrier
.LBB0_18:                               ;   in Loop: Header=BB0_19 Depth=3
	s_add_i32 s56, s56, 1
	s_cmp_ge_i32 s56, s13
	s_waitcnt lgkmcnt(0)
	s_barrier
	s_cbranch_scc1 .LBB0_76
.LBB0_19:                               ;   Parent Loop BB0_3 Depth=1
                                        ;     Parent Loop BB0_12 Depth=2
                                        ; =>    This Loop Header: Depth=3
                                        ;         Child Loop BB0_23 Depth 4
                                        ;           Child Loop BB0_25 Depth 5
                                        ;         Child Loop BB0_29 Depth 4
                                        ;         Child Loop BB0_42 Depth 4
	;; [unrolled: 1-line block ×6, first 2 shown]
	s_ashr_i32 s57, s56, 31
	s_lshl_b64 s[4:5], s[56:57], 2
	s_add_u32 s58, s44, s4
	s_addc_u32 s59, s45, s5
	s_add_u32 s60, s48, s56
	s_addc_u32 s61, s49, s57
	global_load_ubyte v3, v2, s[60:61]
	s_load_dword s58, s[58:59], 0x0
	s_waitcnt vmcnt(0)
	v_readfirstlane_b32 s57, v3
	s_bitcmp1_b32 s57, 0
	s_cselect_b64 s[60:61], -1, 0
	s_add_u32 s4, s50, s4
	s_addc_u32 s5, s51, s5
	s_load_dword s57, s[4:5], 0x0
	s_and_b64 s[4:5], s[60:61], s[18:19]
	s_and_b64 vcc, exec, s[4:5]
	s_cbranch_vccnz .LBB0_44
; %bb.20:                               ;   in Loop: Header=BB0_19 Depth=3
	s_and_saveexec_b64 s[62:63], s[0:1]
	s_cbranch_execz .LBB0_27
; %bb.21:                               ;   in Loop: Header=BB0_19 Depth=3
	s_waitcnt lgkmcnt(0)
	s_mul_i32 s59, s58, s29
	s_mov_b64 s[64:65], 0
	v_mov_b32_e32 v3, v0
	s_branch .LBB0_23
.LBB0_22:                               ;   in Loop: Header=BB0_23 Depth=4
	s_or_b64 exec, exec, s[4:5]
	v_add_f32_e32 v20, -0.5, v20
	v_div_scale_f32 v21, s[4:5], v20, v20, 1.0
	v_div_scale_f32 v22, vcc, 1.0, v20, 1.0
	v_rcp_f32_e32 v23, v21
	v_fma_f32 v24, -v21, v23, 1.0
	v_fmac_f32_e32 v23, v24, v23
	v_mul_f32_e32 v24, v22, v23
	v_fma_f32 v25, -v21, v24, v22
	v_fmac_f32_e32 v24, v25, v23
	v_fma_f32 v21, -v21, v24, v22
	v_div_fmas_f32 v21, v21, v23, v24
	v_cmp_gt_f32_e32 vcc, s79, v20
	v_cndmask_b32_e64 v22, 0, 32, vcc
	v_ldexp_f32 v22, v20, v22
	v_log_f32_e32 v22, v22
	v_cndmask_b32_e32 v23, 0, v18, vcc
	v_mul_f32_e32 v24, 0x3f317217, v22
	v_fma_f32 v24, v22, s80, -v24
	v_fmac_f32_e32 v24, 0x3377d1cf, v22
	v_fmac_f32_e32 v24, 0x3f317217, v22
	v_cmp_lt_f32_e64 vcc, |v22|, s81
	v_cndmask_b32_e32 v22, v22, v24, vcc
	v_sub_f32_e32 v22, v22, v23
	v_div_fixup_f32 v20, v21, v20, 1.0
	v_mul_f32_e32 v20, v20, v20
	v_mul_f32_e32 v21, v20, v20
	v_fmac_f32_e32 v22, 0x3d2aaaab, v20
	v_fmac_f32_e32 v22, 0xbbeeeeef, v21
	v_mul_f32_e32 v23, 0x3b7befbf, v21
	v_mul_f32_e32 v24, 0xbb877777, v21
	v_fmac_f32_e32 v22, v20, v23
	v_fmac_f32_e32 v22, v21, v24
	v_add_f32_e32 v5, v5, v22
	v_mul_f32_e32 v20, 0x3fb8aa3b, v5
	v_fma_f32 v21, v5, s82, -v20
	v_rndne_f32_e32 v22, v20
	v_fmac_f32_e32 v21, 0x32a5705f, v5
	v_sub_f32_e32 v20, v20, v22
	v_add_f32_e32 v20, v20, v21
	v_cvt_i32_f32_e32 v22, v22
	v_exp_f32_e32 v20, v20
	v_cmp_ngt_f32_e64 s[4:5], s83, v5
	v_lshl_add_u32 v21, v3, 2, s33
	v_add_u32_e32 v3, s72, v3
	v_ldexp_f32 v20, v20, v22
	v_cndmask_b32_e64 v20, 0, v20, s[4:5]
	v_cmp_nlt_f32_e64 s[4:5], s84, v5
	v_cmp_le_i32_e32 vcc, s29, v3
	v_cndmask_b32_e64 v5, v19, v20, s[4:5]
	s_waitcnt vmcnt(0)
	v_mul_f32_e32 v4, v4, v5
	s_or_b64 s[64:65], vcc, s[64:65]
	ds_write_b32 v21, v4
	s_andn2_b64 exec, exec, s[64:65]
	s_cbranch_execz .LBB0_27
.LBB0_23:                               ;   Parent Loop BB0_3 Depth=1
                                        ;     Parent Loop BB0_12 Depth=2
                                        ;       Parent Loop BB0_19 Depth=3
                                        ; =>      This Loop Header: Depth=4
                                        ;           Child Loop BB0_25 Depth 5
	v_add_u32_e32 v4, s59, v3
	v_ashrrev_i32_e32 v5, 31, v4
	v_lshlrev_b64 v[21:22], 2, v[4:5]
	v_ashrrev_i32_e32 v4, 31, v3
	v_lshlrev_b64 v[4:5], 2, v[3:4]
	v_mov_b32_e32 v20, s85
	v_add_co_u32_e32 v4, vcc, s7, v4
	v_addc_co_u32_e32 v5, vcc, v20, v5, vcc
	v_mov_b32_e32 v23, s39
	global_load_dword v20, v[4:5], off
	v_add_co_u32_e32 v4, vcc, s38, v21
	v_addc_co_u32_e32 v5, vcc, v23, v22, vcc
	global_load_dword v4, v[4:5], off
	v_mov_b32_e32 v5, 0
	s_waitcnt vmcnt(1)
	v_cmp_gt_f32_e32 vcc, s78, v20
	s_and_saveexec_b64 s[4:5], vcc
	s_cbranch_execz .LBB0_22
; %bb.24:                               ;   in Loop: Header=BB0_23 Depth=4
	v_mov_b32_e32 v5, 0
	s_mov_b64 s[66:67], 0
.LBB0_25:                               ;   Parent Loop BB0_3 Depth=1
                                        ;     Parent Loop BB0_12 Depth=2
                                        ;       Parent Loop BB0_19 Depth=3
                                        ;         Parent Loop BB0_23 Depth=4
                                        ; =>        This Inner Loop Header: Depth=5
	v_div_scale_f32 v21, s[88:89], v20, v20, 1.0
	v_div_scale_f32 v22, vcc, 1.0, v20, 1.0
	v_rcp_f32_e32 v23, v21
	v_fma_f32 v24, -v21, v23, 1.0
	v_fmac_f32_e32 v23, v24, v23
	v_mul_f32_e32 v24, v22, v23
	v_fma_f32 v25, -v21, v24, v22
	v_fmac_f32_e32 v24, v25, v23
	v_fma_f32 v21, -v21, v24, v22
	v_div_fmas_f32 v21, v21, v23, v24
	v_div_fixup_f32 v21, v21, v20, 1.0
	v_add_f32_e32 v20, 1.0, v20
	v_cmp_ngt_f32_e32 vcc, s78, v20
	s_or_b64 s[66:67], vcc, s[66:67]
	v_sub_f32_e32 v5, v5, v21
	s_andn2_b64 exec, exec, s[66:67]
	s_cbranch_execnz .LBB0_25
; %bb.26:                               ;   in Loop: Header=BB0_23 Depth=4
	s_or_b64 exec, exec, s[66:67]
	s_branch .LBB0_22
.LBB0_27:                               ;   in Loop: Header=BB0_19 Depth=3
	s_or_b64 exec, exec, s[62:63]
	v_mov_b32_e32 v3, 0
	s_waitcnt lgkmcnt(0)
	s_barrier
	s_and_saveexec_b64 s[4:5], s[0:1]
	s_cbranch_execz .LBB0_31
; %bb.28:                               ;   in Loop: Header=BB0_19 Depth=3
	v_mov_b32_e32 v3, 0
	s_mov_b64 s[62:63], 0
	v_mov_b32_e32 v4, v16
	v_mov_b32_e32 v5, v0
.LBB0_29:                               ;   Parent Loop BB0_3 Depth=1
                                        ;     Parent Loop BB0_12 Depth=2
                                        ;       Parent Loop BB0_19 Depth=3
                                        ; =>      This Inner Loop Header: Depth=4
	ds_read_b32 v20, v4
	v_add_u32_e32 v5, s72, v5
	v_cmp_le_i32_e32 vcc, s29, v5
	v_add_u32_e32 v4, s76, v4
	s_or_b64 s[62:63], vcc, s[62:63]
	s_waitcnt lgkmcnt(0)
	v_add_f32_e32 v3, v3, v20
	s_andn2_b64 exec, exec, s[62:63]
	s_cbranch_execnz .LBB0_29
; %bb.30:                               ;   in Loop: Header=BB0_19 Depth=3
	s_or_b64 exec, exec, s[62:63]
.LBB0_31:                               ;   in Loop: Header=BB0_19 Depth=3
	s_or_b64 exec, exec, s[4:5]
	ds_bpermute_b32 v4, v8, v3
	s_waitcnt lgkmcnt(0)
	v_add_f32_e32 v3, v3, v4
	ds_bpermute_b32 v4, v9, v3
	s_waitcnt lgkmcnt(0)
	v_add_f32_e32 v3, v3, v4
	;; [unrolled: 3-line block ×4, first 2 shown]
	ds_bpermute_b32 v4, v12, v3
	s_and_saveexec_b64 s[4:5], s[2:3]
	s_cbranch_execz .LBB0_33
; %bb.32:                               ;   in Loop: Header=BB0_19 Depth=3
	s_waitcnt lgkmcnt(0)
	v_add_f32_e32 v3, v3, v4
	ds_write_b32 v6, v3
.LBB0_33:                               ;   in Loop: Header=BB0_19 Depth=3
	s_or_b64 exec, exec, s[4:5]
	s_andn2_b64 vcc, exec, s[42:43]
	s_waitcnt lgkmcnt(0)
	s_barrier
	s_cbranch_vccnz .LBB0_40
; %bb.34:                               ;   in Loop: Header=BB0_19 Depth=3
	v_mov_b32_e32 v3, 0
	s_and_saveexec_b64 s[4:5], s[10:11]
; %bb.35:                               ;   in Loop: Header=BB0_19 Depth=3
	ds_read_b32 v3, v7
; %bb.36:                               ;   in Loop: Header=BB0_19 Depth=3
	s_or_b64 exec, exec, s[4:5]
	s_and_saveexec_b64 s[4:5], s[16:17]
	s_cbranch_execz .LBB0_39
; %bb.37:                               ;   in Loop: Header=BB0_19 Depth=3
	s_waitcnt lgkmcnt(0)
	ds_bpermute_b32 v4, v8, v3
	s_waitcnt lgkmcnt(0)
	v_add_f32_e32 v3, v3, v4
	ds_bpermute_b32 v4, v9, v3
	s_waitcnt lgkmcnt(0)
	v_add_f32_e32 v3, v3, v4
	;; [unrolled: 3-line block ×4, first 2 shown]
	ds_bpermute_b32 v4, v12, v3
	s_and_b64 exec, exec, s[8:9]
	s_cbranch_execz .LBB0_39
; %bb.38:                               ;   in Loop: Header=BB0_19 Depth=3
	s_waitcnt lgkmcnt(0)
	v_add_f32_e32 v3, v3, v4
	ds_write_b32 v2, v3
.LBB0_39:                               ;   in Loop: Header=BB0_19 Depth=3
	s_or_b64 exec, exec, s[4:5]
	s_waitcnt lgkmcnt(0)
	s_barrier
.LBB0_40:                               ;   in Loop: Header=BB0_19 Depth=3
	s_and_saveexec_b64 s[4:5], s[0:1]
	s_cbranch_execz .LBB0_43
; %bb.41:                               ;   in Loop: Header=BB0_19 Depth=3
	ds_read_b32 v3, v2
	s_and_b64 s[62:63], s[60:61], exec
	s_cselect_b32 s59, s68, 0x80
	s_mov_b64 s[62:63], 0
	v_mov_b32_e32 v4, v13
	v_mov_b32_e32 v5, v0
.LBB0_42:                               ;   Parent Loop BB0_3 Depth=1
                                        ;     Parent Loop BB0_12 Depth=2
                                        ;       Parent Loop BB0_19 Depth=3
                                        ; =>      This Inner Loop Header: Depth=4
	v_add_u32_e32 v20, s33, v4
	ds_read_b32 v21, v20
	v_add_u32_e32 v5, s72, v5
	s_waitcnt lgkmcnt(0)
	v_div_scale_f32 v22, s[64:65], v3, v3, v21
	v_div_scale_f32 v23, vcc, v21, v3, v21
	v_rcp_f32_e32 v24, v22
	v_fma_f32 v25, -v22, v24, 1.0
	v_fmac_f32_e32 v24, v25, v24
	v_mul_f32_e32 v25, v23, v24
	v_fma_f32 v26, -v22, v25, v23
	v_fmac_f32_e32 v25, v26, v24
	v_fma_f32 v22, -v22, v25, v23
	v_div_fmas_f32 v22, v22, v24, v25
	v_add_u32_e32 v23, s59, v4
	v_cmp_le_i32_e32 vcc, s29, v5
	v_add_u32_e32 v4, s76, v4
	s_or_b64 s[62:63], vcc, s[62:63]
	v_div_fixup_f32 v21, v22, v3, v21
	ds_write_b32 v20, v21
	ds_read_b32 v20, v23
	s_waitcnt lgkmcnt(0)
	v_fmac_f32_e32 v20, s57, v21
	ds_write_b32 v23, v20
	s_andn2_b64 exec, exec, s[62:63]
	s_cbranch_execnz .LBB0_42
.LBB0_43:                               ;   in Loop: Header=BB0_19 Depth=3
	s_or_b64 exec, exec, s[4:5]
	s_waitcnt lgkmcnt(0)
	s_barrier
.LBB0_44:                               ;   in Loop: Header=BB0_19 Depth=3
	s_andn2_b64 vcc, exec, s[54:55]
	s_cbranch_vccnz .LBB0_18
; %bb.45:                               ;   in Loop: Header=BB0_19 Depth=3
	s_xor_b64 s[4:5], s[60:61], -1
	s_andn2_b64 vcc, exec, s[4:5]
	s_cbranch_vccnz .LBB0_55
; %bb.46:                               ;   in Loop: Header=BB0_19 Depth=3
	s_and_saveexec_b64 s[60:61], s[8:9]
	s_cbranch_execz .LBB0_49
; %bb.47:                               ;   in Loop: Header=BB0_19 Depth=3
	s_waitcnt lgkmcnt(0)
	s_ashr_i32 s59, s58, 31
	s_lshl_b64 s[62:63], s[58:59], 2
	s_add_u32 s62, s26, s62
	s_addc_u32 s63, s27, s63
	s_mov_b64 s[64:65], 0
.LBB0_48:                               ;   Parent Loop BB0_3 Depth=1
                                        ;     Parent Loop BB0_12 Depth=2
                                        ;       Parent Loop BB0_19 Depth=3
                                        ; =>      This Inner Loop Header: Depth=4
	global_atomic_cmpswap v3, v2, v[1:2], s[62:63] glc
	s_waitcnt vmcnt(0)
	v_cmp_eq_u32_e32 vcc, 0, v3
	s_or_b64 s[64:65], vcc, s[64:65]
	s_andn2_b64 exec, exec, s[64:65]
	s_cbranch_execnz .LBB0_48
.LBB0_49:                               ;   in Loop: Header=BB0_19 Depth=3
	s_or_b64 exec, exec, s[60:61]
	s_waitcnt lgkmcnt(0)
	s_barrier
	s_and_saveexec_b64 s[60:61], s[0:1]
	s_cbranch_execz .LBB0_52
; %bb.50:                               ;   in Loop: Header=BB0_19 Depth=3
	s_mul_i32 s59, s58, s29
	s_mov_b64 s[62:63], 0
	v_mov_b32_e32 v3, v16
	v_mov_b32_e32 v4, v0
.LBB0_51:                               ;   Parent Loop BB0_3 Depth=1
                                        ;     Parent Loop BB0_12 Depth=2
                                        ;       Parent Loop BB0_19 Depth=3
                                        ; =>      This Inner Loop Header: Depth=4
	v_add_u32_e32 v20, s59, v4
	v_ashrrev_i32_e32 v21, 31, v20
	v_lshlrev_b64 v[20:21], 2, v[20:21]
	v_mov_b32_e32 v5, s21
	v_add_co_u32_e32 v20, vcc, s20, v20
	v_addc_co_u32_e32 v21, vcc, v5, v21, vcc
	global_load_dword v5, v[20:21], off
	ds_read_b32 v22, v3
	v_add_u32_e32 v4, s72, v4
	v_cmp_le_i32_e32 vcc, s29, v4
	v_add_u32_e32 v3, s76, v3
	s_or_b64 s[62:63], vcc, s[62:63]
	s_waitcnt vmcnt(0) lgkmcnt(0)
	v_fmac_f32_e32 v5, s57, v22
	global_store_dword v[20:21], v5, off
	s_andn2_b64 exec, exec, s[62:63]
	s_cbranch_execnz .LBB0_51
.LBB0_52:                               ;   in Loop: Header=BB0_19 Depth=3
	s_or_b64 exec, exec, s[60:61]
	s_waitcnt vmcnt(0)
	s_barrier
	s_and_saveexec_b64 s[60:61], s[8:9]
	s_cbranch_execz .LBB0_54
; %bb.53:                               ;   in Loop: Header=BB0_19 Depth=3
	s_ashr_i32 s59, s58, 31
	s_lshl_b64 s[62:63], s[58:59], 2
	s_add_u32 s62, s26, s62
	s_addc_u32 s63, s27, s63
	global_store_dword v2, v2, s[62:63]
.LBB0_54:                               ;   in Loop: Header=BB0_19 Depth=3
	s_or_b64 exec, exec, s[60:61]
	s_waitcnt vmcnt(0)
	s_barrier
.LBB0_55:                               ;   in Loop: Header=BB0_19 Depth=3
	s_and_saveexec_b64 s[60:61], s[0:1]
	s_cbranch_execz .LBB0_58
; %bb.56:                               ;   in Loop: Header=BB0_19 Depth=3
	s_waitcnt lgkmcnt(0)
	s_mul_i32 s62, s58, s29
	s_mov_b64 s[58:59], 0
	v_mov_b32_e32 v3, v15
	v_mov_b32_e32 v4, v0
.LBB0_57:                               ;   Parent Loop BB0_3 Depth=1
                                        ;     Parent Loop BB0_12 Depth=2
                                        ;       Parent Loop BB0_19 Depth=3
                                        ; =>      This Inner Loop Header: Depth=4
	v_add_u32_e32 v20, s62, v4
	v_ashrrev_i32_e32 v21, 31, v20
	v_lshlrev_b64 v[20:21], 2, v[20:21]
	v_mov_b32_e32 v5, s39
	v_add_co_u32_e32 v20, vcc, s38, v20
	v_addc_co_u32_e32 v21, vcc, v5, v21, vcc
	global_load_dword v5, v[20:21], off
	v_add_u32_e32 v20, s77, v3
	v_add_u32_e32 v21, s31, v3
	;; [unrolled: 1-line block ×4, first 2 shown]
	s_waitcnt vmcnt(0)
	v_max_f32_e32 v5, v5, v5
	v_max_f32_e32 v5, 0x358637bd, v5
	v_cmp_gt_f32_e32 vcc, s79, v5
	v_cndmask_b32_e64 v22, 0, 32, vcc
	v_ldexp_f32 v5, v5, v22
	v_log_f32_e32 v5, v5
	v_cndmask_b32_e32 v22, 0, v18, vcc
	v_mul_f32_e32 v23, 0x3f317217, v5
	v_fma_f32 v23, v5, s80, -v23
	v_fmac_f32_e32 v23, 0x3377d1cf, v5
	v_fmac_f32_e32 v23, 0x3f317217, v5
	v_cmp_lt_f32_e64 vcc, |v5|, s81
	v_cndmask_b32_e32 v5, v5, v23, vcc
	v_sub_f32_e32 v5, v5, v22
	ds_write_b32 v20, v5
	ds_read_b32 v22, v21
	s_waitcnt lgkmcnt(0)
	v_max_f32_e32 v22, v22, v22
	v_max_f32_e32 v22, 0x358637bd, v22
	v_cmp_gt_f32_e32 vcc, s79, v22
	v_cndmask_b32_e64 v23, 0, 32, vcc
	v_ldexp_f32 v22, v22, v23
	v_log_f32_e32 v22, v22
	v_cndmask_b32_e32 v23, 0, v18, vcc
	v_mul_f32_e32 v24, 0x3f317217, v22
	v_fma_f32 v24, v22, s80, -v24
	v_fmac_f32_e32 v24, 0x3377d1cf, v22
	v_fmac_f32_e32 v24, 0x3f317217, v22
	v_cmp_lt_f32_e64 vcc, |v22|, s81
	v_cndmask_b32_e32 v22, v22, v24, vcc
	v_sub_f32_e32 v22, v22, v23
	v_sub_f32_e32 v5, v5, v22
	ds_write_b32 v20, v5
	ds_read_b32 v21, v21
	v_cmp_le_i32_e32 vcc, s29, v4
	s_or_b64 s[58:59], vcc, s[58:59]
	s_waitcnt lgkmcnt(0)
	v_mul_f32_e32 v5, v21, v5
	ds_write_b32 v20, v5
	s_andn2_b64 exec, exec, s[58:59]
	s_cbranch_execnz .LBB0_57
.LBB0_58:                               ;   in Loop: Header=BB0_19 Depth=3
	s_or_b64 exec, exec, s[60:61]
	v_mov_b32_e32 v3, 0
	s_waitcnt lgkmcnt(0)
	s_barrier
	s_and_saveexec_b64 s[58:59], s[0:1]
	s_cbranch_execz .LBB0_62
; %bb.59:                               ;   in Loop: Header=BB0_19 Depth=3
	v_mov_b32_e32 v3, 0
	s_mov_b64 s[60:61], 0
	v_mov_b32_e32 v4, v17
	v_mov_b32_e32 v5, v0
.LBB0_60:                               ;   Parent Loop BB0_3 Depth=1
                                        ;     Parent Loop BB0_12 Depth=2
                                        ;       Parent Loop BB0_19 Depth=3
                                        ; =>      This Inner Loop Header: Depth=4
	ds_read_b32 v20, v4
	v_add_u32_e32 v5, s72, v5
	v_cmp_le_i32_e32 vcc, s29, v5
	v_add_u32_e32 v4, s76, v4
	s_or_b64 s[60:61], vcc, s[60:61]
	s_waitcnt lgkmcnt(0)
	v_add_f32_e32 v3, v3, v20
	s_andn2_b64 exec, exec, s[60:61]
	s_cbranch_execnz .LBB0_60
; %bb.61:                               ;   in Loop: Header=BB0_19 Depth=3
	s_or_b64 exec, exec, s[60:61]
.LBB0_62:                               ;   in Loop: Header=BB0_19 Depth=3
	s_or_b64 exec, exec, s[58:59]
	ds_bpermute_b32 v4, v8, v3
	s_waitcnt lgkmcnt(0)
	v_add_f32_e32 v3, v3, v4
	ds_bpermute_b32 v4, v9, v3
	s_waitcnt lgkmcnt(0)
	v_add_f32_e32 v3, v3, v4
	;; [unrolled: 3-line block ×4, first 2 shown]
	ds_bpermute_b32 v4, v12, v3
	s_and_saveexec_b64 s[58:59], s[2:3]
	s_cbranch_execz .LBB0_64
; %bb.63:                               ;   in Loop: Header=BB0_19 Depth=3
	s_waitcnt lgkmcnt(0)
	v_add_f32_e32 v3, v3, v4
	ds_write_b32 v6, v3
.LBB0_64:                               ;   in Loop: Header=BB0_19 Depth=3
	s_or_b64 exec, exec, s[58:59]
	s_andn2_b64 vcc, exec, s[42:43]
	s_waitcnt lgkmcnt(0)
	s_barrier
	s_cbranch_vccnz .LBB0_71
; %bb.65:                               ;   in Loop: Header=BB0_19 Depth=3
	v_mov_b32_e32 v3, 0
	s_and_saveexec_b64 s[58:59], s[10:11]
; %bb.66:                               ;   in Loop: Header=BB0_19 Depth=3
	ds_read_b32 v3, v7
; %bb.67:                               ;   in Loop: Header=BB0_19 Depth=3
	s_or_b64 exec, exec, s[58:59]
	s_and_saveexec_b64 s[58:59], s[16:17]
	s_cbranch_execz .LBB0_70
; %bb.68:                               ;   in Loop: Header=BB0_19 Depth=3
	s_waitcnt lgkmcnt(0)
	ds_bpermute_b32 v4, v8, v3
	s_waitcnt lgkmcnt(0)
	v_add_f32_e32 v3, v3, v4
	ds_bpermute_b32 v4, v9, v3
	s_waitcnt lgkmcnt(0)
	v_add_f32_e32 v3, v3, v4
	;; [unrolled: 3-line block ×4, first 2 shown]
	ds_bpermute_b32 v4, v12, v3
	s_and_b64 exec, exec, s[8:9]
	s_cbranch_execz .LBB0_70
; %bb.69:                               ;   in Loop: Header=BB0_19 Depth=3
	s_waitcnt lgkmcnt(0)
	v_add_f32_e32 v3, v3, v4
	ds_write_b32 v2, v3
.LBB0_70:                               ;   in Loop: Header=BB0_19 Depth=3
	s_or_b64 exec, exec, s[58:59]
	s_waitcnt lgkmcnt(0)
	s_barrier
.LBB0_71:                               ;   in Loop: Header=BB0_19 Depth=3
	s_and_saveexec_b64 s[58:59], s[8:9]
	s_cbranch_execz .LBB0_17
; %bb.72:                               ;   in Loop: Header=BB0_19 Depth=3
	ds_read_b32 v3, v2
	s_mov_b64 s[60:61], -1
	s_and_b64 vcc, exec, s[4:5]
	s_waitcnt lgkmcnt(0)
	v_mul_f32_e32 v3, s57, v3
	s_cbranch_vccz .LBB0_74
; %bb.73:                               ;   in Loop: Header=BB0_19 Depth=3
	global_load_dword v4, v2, s[22:23]
	s_mov_b64 s[60:61], 0
	s_waitcnt vmcnt(0)
	v_add_f32_e32 v4, v3, v4
	global_store_dword v2, v4, s[22:23]
.LBB0_74:                               ;   in Loop: Header=BB0_19 Depth=3
	s_andn2_b64 vcc, exec, s[60:61]
	s_cbranch_vccnz .LBB0_17
; %bb.75:                               ;   in Loop: Header=BB0_19 Depth=3
	global_load_dword v4, v2, s[24:25]
	s_waitcnt vmcnt(0)
	v_add_f32_e32 v3, v3, v4
	global_store_dword v2, v3, s[24:25]
	s_branch .LBB0_17
.LBB0_76:                               ;   in Loop: Header=BB0_12 Depth=2
	s_and_saveexec_b64 s[18:19], s[0:1]
	s_cbranch_execz .LBB0_11
; %bb.77:                               ;   in Loop: Header=BB0_12 Depth=2
	s_mov_b64 s[54:55], 0
	v_mov_b32_e32 v5, v15
	v_mov_b32_e32 v3, v0
.LBB0_78:                               ;   Parent Loop BB0_3 Depth=1
                                        ;     Parent Loop BB0_12 Depth=2
                                        ; =>    This Inner Loop Header: Depth=3
	v_ashrrev_i32_e32 v4, 31, v3
	v_lshlrev_b64 v[20:21], 2, v[3:4]
	v_mov_b32_e32 v23, s37
	v_add_co_u32_e32 v22, vcc, s36, v20
	v_addc_co_u32_e32 v23, vcc, v23, v21, vcc
	global_load_dword v4, v[22:23], off
	ds_read_b32 v22, v5
	v_add_u32_e32 v3, s72, v3
	v_mov_b32_e32 v23, s85
	v_cmp_le_i32_e32 vcc, s29, v3
	v_add_co_u32_e64 v20, s[4:5], s7, v20
	v_add_u32_e32 v5, s76, v5
	v_addc_co_u32_e64 v21, s[4:5], v23, v21, s[4:5]
	s_or_b64 s[54:55], vcc, s[54:55]
	s_waitcnt vmcnt(0) lgkmcnt(0)
	v_add_f32_e32 v4, v22, v4
	global_store_dword v[20:21], v4, off
	s_andn2_b64 exec, exec, s[54:55]
	s_cbranch_execnz .LBB0_78
	s_branch .LBB0_11
.LBB0_79:                               ;   in Loop: Header=BB0_3 Depth=1
	v_mov_b32_e32 v5, 0
	s_and_saveexec_b64 s[4:5], s[0:1]
	s_cbranch_execz .LBB0_83
; %bb.80:                               ;   in Loop: Header=BB0_3 Depth=1
	v_mov_b32_e32 v5, 0
	s_mov_b64 s[12:13], 0
	v_mov_b32_e32 v3, v0
.LBB0_81:                               ;   Parent Loop BB0_3 Depth=1
                                        ; =>  This Inner Loop Header: Depth=2
	v_ashrrev_i32_e32 v4, 31, v3
	v_lshlrev_b64 v[20:21], 2, v[3:4]
	v_mov_b32_e32 v4, s85
	v_add_co_u32_e32 v20, vcc, s7, v20
	v_addc_co_u32_e32 v21, vcc, v4, v21, vcc
	global_load_dword v4, v[20:21], off
	v_add_u32_e32 v3, s72, v3
	v_cmp_le_i32_e32 vcc, s29, v3
	s_or_b64 s[12:13], vcc, s[12:13]
	s_waitcnt vmcnt(0)
	v_add_f32_e32 v5, v5, v4
	s_andn2_b64 exec, exec, s[12:13]
	s_cbranch_execnz .LBB0_81
; %bb.82:                               ;   in Loop: Header=BB0_3 Depth=1
	s_or_b64 exec, exec, s[12:13]
.LBB0_83:                               ;   in Loop: Header=BB0_3 Depth=1
	s_or_b64 exec, exec, s[4:5]
	ds_bpermute_b32 v3, v8, v5
	s_waitcnt lgkmcnt(0)
	v_add_f32_e32 v3, v5, v3
	ds_bpermute_b32 v4, v9, v3
	s_waitcnt lgkmcnt(0)
	v_add_f32_e32 v3, v3, v4
	;; [unrolled: 3-line block ×4, first 2 shown]
	ds_bpermute_b32 v4, v12, v3
	s_and_saveexec_b64 s[4:5], s[2:3]
	s_cbranch_execz .LBB0_85
; %bb.84:                               ;   in Loop: Header=BB0_3 Depth=1
	s_waitcnt lgkmcnt(0)
	v_add_f32_e32 v3, v3, v4
	ds_write_b32 v6, v3
.LBB0_85:                               ;   in Loop: Header=BB0_3 Depth=1
	s_or_b64 exec, exec, s[4:5]
	v_cndmask_b32_e64 v3, 0, 1, s[42:43]
	v_cmp_ne_u32_e64 s[12:13], 1, v3
	s_andn2_b64 vcc, exec, s[42:43]
	s_waitcnt lgkmcnt(0)
	s_barrier
	s_cbranch_vccnz .LBB0_92
; %bb.86:                               ;   in Loop: Header=BB0_3 Depth=1
	v_mov_b32_e32 v3, 0
	s_and_saveexec_b64 s[4:5], s[10:11]
; %bb.87:                               ;   in Loop: Header=BB0_3 Depth=1
	ds_read_b32 v3, v7
; %bb.88:                               ;   in Loop: Header=BB0_3 Depth=1
	s_or_b64 exec, exec, s[4:5]
	s_and_saveexec_b64 s[4:5], s[16:17]
	s_cbranch_execz .LBB0_91
; %bb.89:                               ;   in Loop: Header=BB0_3 Depth=1
	s_waitcnt lgkmcnt(0)
	ds_bpermute_b32 v4, v8, v3
	s_waitcnt lgkmcnt(0)
	v_add_f32_e32 v3, v3, v4
	ds_bpermute_b32 v4, v9, v3
	s_waitcnt lgkmcnt(0)
	v_add_f32_e32 v3, v3, v4
	;; [unrolled: 3-line block ×4, first 2 shown]
	ds_bpermute_b32 v4, v12, v3
	s_and_b64 exec, exec, s[8:9]
	s_cbranch_execz .LBB0_91
; %bb.90:                               ;   in Loop: Header=BB0_3 Depth=1
	s_waitcnt lgkmcnt(0)
	v_add_f32_e32 v3, v3, v4
	ds_write_b32 v2, v3
.LBB0_91:                               ;   in Loop: Header=BB0_3 Depth=1
	s_or_b64 exec, exec, s[4:5]
	s_waitcnt lgkmcnt(0)
	s_barrier
.LBB0_92:                               ;   in Loop: Header=BB0_3 Depth=1
	v_mov_b32_e32 v3, 0
	s_and_saveexec_b64 s[54:55], s[0:1]
	s_cbranch_execz .LBB0_105
; %bb.93:                               ;   in Loop: Header=BB0_3 Depth=1
	ds_read_b32 v20, v2
	s_mov_b64 s[56:57], 0
	v_mov_b32_e32 v3, v0
	s_waitcnt lgkmcnt(0)
	v_cmp_gt_f32_e64 s[14:15], s78, v20
	s_branch .LBB0_95
.LBB0_94:                               ;   in Loop: Header=BB0_95 Depth=2
	v_add_f32_e32 v23, -0.5, v23
	v_div_scale_f32 v25, s[4:5], v23, v23, 1.0
	v_mov_b32_e32 v26, s70
	v_add_co_u32_e64 v4, s[4:5], s69, v4
	v_addc_co_u32_e64 v5, s[4:5], v26, v5, s[4:5]
	global_load_dword v26, v[4:5], off
	v_div_scale_f32 v27, vcc, 1.0, v23, 1.0
	v_add_f32_e32 v24, -0.5, v24
	v_div_scale_f32 v28, s[18:19], v24, v24, 1.0
	v_div_scale_f32 v29, s[18:19], 1.0, v24, 1.0
	v_cmp_gt_f32_e64 s[4:5], s79, v23
	v_rcp_f32_e32 v30, v25
	v_cndmask_b32_e64 v31, 0, 32, s[4:5]
	v_ldexp_f32 v31, v23, v31
	v_log_f32_e32 v31, v31
	v_fma_f32 v32, -v25, v30, 1.0
	v_fmac_f32_e32 v30, v32, v30
	v_mul_f32_e32 v32, v27, v30
	v_fma_f32 v33, -v25, v32, v27
	v_fmac_f32_e32 v32, v33, v30
	v_fma_f32 v25, -v25, v32, v27
	v_div_fmas_f32 v25, v25, v30, v32
	v_mul_f32_e32 v27, 0x3f317217, v31
	v_rcp_f32_e32 v30, v28
	v_fma_f32 v27, v31, s80, -v27
	v_fmac_f32_e32 v27, 0x3377d1cf, v31
	v_cmp_lt_f32_e64 vcc, |v31|, s81
	v_fmac_f32_e32 v27, 0x3f317217, v31
	v_cndmask_b32_e32 v27, v31, v27, vcc
	v_fma_f32 v31, -v28, v30, 1.0
	v_fmac_f32_e32 v30, v31, v30
	v_mul_f32_e32 v31, v29, v30
	v_fma_f32 v32, -v28, v31, v29
	v_fmac_f32_e32 v31, v32, v30
	v_fma_f32 v28, -v28, v31, v29
	s_mov_b64 vcc, s[18:19]
	v_div_fmas_f32 v28, v28, v30, v31
	v_div_fixup_f32 v23, v25, v23, 1.0
	v_cndmask_b32_e64 v29, 0, v18, s[4:5]
	v_mul_f32_e32 v23, v23, v23
	v_sub_f32_e32 v27, v27, v29
	v_mul_f32_e32 v25, v23, v23
	v_fmac_f32_e32 v27, 0x3d2aaaab, v23
	v_cmp_gt_f32_e32 vcc, s79, v24
	v_fmac_f32_e32 v27, 0xbbeeeeef, v25
	v_mul_f32_e32 v29, 0x3b7befbf, v25
	s_and_b64 s[4:5], vcc, exec
	v_fmac_f32_e32 v27, v23, v29
	v_mul_f32_e32 v23, 0x3b877777, v25
	s_cselect_b32 s4, 32, 0
	v_fma_f32 v23, -v25, v23, v27
	v_ldexp_f32 v25, v24, s4
	v_log_f32_e32 v25, v25
	v_div_fixup_f32 v24, v28, v24, 1.0
	v_add_f32_e32 v21, v21, v23
	v_cndmask_b32_e32 v23, 0, v18, vcc
	v_mul_f32_e32 v28, 0x3f317217, v25
	v_fma_f32 v28, v25, s80, -v28
	v_fmac_f32_e32 v28, 0x3377d1cf, v25
	v_fmac_f32_e32 v28, 0x3f317217, v25
	v_cmp_lt_f32_e64 vcc, |v25|, s81
	v_cndmask_b32_e32 v25, v25, v28, vcc
	v_mul_f32_e32 v24, v24, v24
	v_sub_f32_e32 v23, v25, v23
	v_mul_f32_e32 v27, v24, v24
	v_fmac_f32_e32 v23, 0x3d2aaaab, v24
	v_fmac_f32_e32 v23, 0xbbeeeeef, v27
	v_mul_f32_e32 v25, 0x3b7befbf, v27
	v_fmac_f32_e32 v23, v24, v25
	v_lshlrev_b32_e32 v24, 2, v3
	v_add_u32_e32 v25, 0x80, v24
	ds_read_b32 v28, v25
	v_mul_f32_e32 v29, 0x3b877777, v27
	v_fma_f32 v23, -v27, v29, v23
	v_add_f32_e32 v22, v22, v23
	v_sub_f32_e32 v21, v21, v22
	s_waitcnt lgkmcnt(0)
	v_mul_f32_e32 v22, v28, v21
	ds_write_b32 v25, v22
	v_add_u32_e32 v22, s68, v24
	ds_read_b32 v23, v22
	v_add_u32_e32 v3, s72, v3
	s_waitcnt vmcnt(0)
	v_add_f32_e32 v24, v26, v21
	v_cmp_le_i32_e32 vcc, s29, v3
	global_store_dword v[4:5], v24, off
	s_waitcnt lgkmcnt(0)
	v_mul_f32_e32 v4, v23, v21
	s_or_b64 s[56:57], vcc, s[56:57]
	ds_write_b32 v22, v4
	s_andn2_b64 exec, exec, s[56:57]
	s_cbranch_execz .LBB0_102
.LBB0_95:                               ;   Parent Loop BB0_3 Depth=1
                                        ; =>  This Loop Header: Depth=2
                                        ;       Child Loop BB0_97 Depth 3
                                        ;       Child Loop BB0_101 Depth 3
	v_ashrrev_i32_e32 v4, 31, v3
	v_lshlrev_b64 v[4:5], 2, v[3:4]
	v_mov_b32_e32 v22, s85
	v_add_co_u32_e32 v21, vcc, s7, v4
	v_addc_co_u32_e32 v22, vcc, v22, v5, vcc
	global_load_dword v23, v[21:22], off
	v_mov_b32_e32 v21, 0
	s_waitcnt vmcnt(0)
	v_cmp_gt_f32_e32 vcc, s78, v23
	s_and_saveexec_b64 s[4:5], vcc
	s_cbranch_execz .LBB0_99
; %bb.96:                               ;   in Loop: Header=BB0_95 Depth=2
	v_mov_b32_e32 v21, 0
	s_mov_b64 s[18:19], 0
.LBB0_97:                               ;   Parent Loop BB0_3 Depth=1
                                        ;     Parent Loop BB0_95 Depth=2
                                        ; =>    This Inner Loop Header: Depth=3
	v_div_scale_f32 v22, s[58:59], v23, v23, 1.0
	v_div_scale_f32 v24, vcc, 1.0, v23, 1.0
	v_rcp_f32_e32 v25, v22
	v_fma_f32 v26, -v22, v25, 1.0
	v_fmac_f32_e32 v25, v26, v25
	v_mul_f32_e32 v26, v24, v25
	v_fma_f32 v27, -v22, v26, v24
	v_fmac_f32_e32 v26, v27, v25
	v_fma_f32 v22, -v22, v26, v24
	v_div_fmas_f32 v22, v22, v25, v26
	v_div_fixup_f32 v22, v22, v23, 1.0
	v_add_f32_e32 v23, 1.0, v23
	v_cmp_ngt_f32_e32 vcc, s78, v23
	s_or_b64 s[18:19], vcc, s[18:19]
	v_sub_f32_e32 v21, v21, v22
	s_andn2_b64 exec, exec, s[18:19]
	s_cbranch_execnz .LBB0_97
; %bb.98:                               ;   in Loop: Header=BB0_95 Depth=2
	s_or_b64 exec, exec, s[18:19]
.LBB0_99:                               ;   in Loop: Header=BB0_95 Depth=2
	s_or_b64 exec, exec, s[4:5]
	v_mov_b32_e32 v22, 0
	s_andn2_b64 vcc, exec, s[14:15]
	v_mov_b32_e32 v24, v20
	s_cbranch_vccnz .LBB0_94
; %bb.100:                              ;   in Loop: Header=BB0_95 Depth=2
	v_mov_b32_e32 v22, 0
	v_mov_b32_e32 v24, v20
.LBB0_101:                              ;   Parent Loop BB0_3 Depth=1
                                        ;     Parent Loop BB0_95 Depth=2
                                        ; =>    This Inner Loop Header: Depth=3
	v_div_scale_f32 v25, s[4:5], v24, v24, 1.0
	v_div_scale_f32 v26, vcc, 1.0, v24, 1.0
	v_rcp_f32_e32 v27, v25
	v_fma_f32 v28, -v25, v27, 1.0
	v_fmac_f32_e32 v27, v28, v27
	v_mul_f32_e32 v28, v26, v27
	v_fma_f32 v29, -v25, v28, v26
	v_fmac_f32_e32 v28, v29, v27
	v_fma_f32 v25, -v25, v28, v26
	v_div_fmas_f32 v25, v25, v27, v28
	v_div_fixup_f32 v25, v25, v24, 1.0
	v_add_f32_e32 v24, 1.0, v24
	v_cmp_gt_f32_e32 vcc, s78, v24
	v_sub_f32_e32 v22, v22, v25
	s_cbranch_vccnz .LBB0_101
	s_branch .LBB0_94
.LBB0_102:                              ;   in Loop: Header=BB0_3 Depth=1
	s_or_b64 exec, exec, s[56:57]
	v_mov_b32_e32 v3, 0
	s_mov_b64 s[4:5], 0
	v_mov_b32_e32 v4, v15
	v_mov_b32_e32 v5, v0
.LBB0_103:                              ;   Parent Loop BB0_3 Depth=1
                                        ; =>  This Inner Loop Header: Depth=2
	ds_read_b32 v20, v4
	v_add_u32_e32 v5, s72, v5
	v_cmp_le_i32_e32 vcc, s29, v5
	v_add_u32_e32 v4, s76, v4
	s_or_b64 s[4:5], vcc, s[4:5]
	s_waitcnt lgkmcnt(0)
	v_add_f32_e32 v3, v3, v20
	s_andn2_b64 exec, exec, s[4:5]
	s_cbranch_execnz .LBB0_103
; %bb.104:                              ;   in Loop: Header=BB0_3 Depth=1
	s_or_b64 exec, exec, s[4:5]
.LBB0_105:                              ;   in Loop: Header=BB0_3 Depth=1
	s_or_b64 exec, exec, s[54:55]
	ds_bpermute_b32 v4, v8, v3
	s_waitcnt lgkmcnt(0)
	v_add_f32_e32 v3, v3, v4
	ds_bpermute_b32 v4, v9, v3
	s_waitcnt lgkmcnt(0)
	v_add_f32_e32 v3, v3, v4
	;; [unrolled: 3-line block ×4, first 2 shown]
	ds_bpermute_b32 v4, v12, v3
	s_and_saveexec_b64 s[4:5], s[2:3]
	s_cbranch_execz .LBB0_107
; %bb.106:                              ;   in Loop: Header=BB0_3 Depth=1
	s_waitcnt lgkmcnt(0)
	v_add_f32_e32 v3, v3, v4
	ds_write_b32 v6, v3
.LBB0_107:                              ;   in Loop: Header=BB0_3 Depth=1
	s_or_b64 exec, exec, s[4:5]
	s_and_b64 vcc, exec, s[12:13]
	s_waitcnt vmcnt(0) lgkmcnt(0)
	s_barrier
	s_cbranch_vccnz .LBB0_114
; %bb.108:                              ;   in Loop: Header=BB0_3 Depth=1
	v_mov_b32_e32 v3, 0
	s_and_saveexec_b64 s[4:5], s[10:11]
; %bb.109:                              ;   in Loop: Header=BB0_3 Depth=1
	ds_read_b32 v3, v7
; %bb.110:                              ;   in Loop: Header=BB0_3 Depth=1
	s_or_b64 exec, exec, s[4:5]
	s_and_saveexec_b64 s[4:5], s[16:17]
	s_cbranch_execz .LBB0_113
; %bb.111:                              ;   in Loop: Header=BB0_3 Depth=1
	s_waitcnt lgkmcnt(0)
	ds_bpermute_b32 v4, v8, v3
	s_waitcnt lgkmcnt(0)
	v_add_f32_e32 v3, v3, v4
	ds_bpermute_b32 v4, v9, v3
	s_waitcnt lgkmcnt(0)
	v_add_f32_e32 v3, v3, v4
	;; [unrolled: 3-line block ×4, first 2 shown]
	ds_bpermute_b32 v4, v12, v3
	s_and_b64 exec, exec, s[8:9]
	s_cbranch_execz .LBB0_113
; %bb.112:                              ;   in Loop: Header=BB0_3 Depth=1
	s_waitcnt lgkmcnt(0)
	v_add_f32_e32 v3, v3, v4
	ds_write_b32 v2, v3
.LBB0_113:                              ;   in Loop: Header=BB0_3 Depth=1
	s_or_b64 exec, exec, s[4:5]
	s_waitcnt lgkmcnt(0)
	s_barrier
.LBB0_114:                              ;   in Loop: Header=BB0_3 Depth=1
	ds_read_b32 v3, v2
	v_mov_b32_e32 v4, 0
	s_and_saveexec_b64 s[4:5], s[0:1]
	s_cbranch_execz .LBB0_118
; %bb.115:                              ;   in Loop: Header=BB0_3 Depth=1
	v_mov_b32_e32 v4, 0
	s_mov_b64 s[14:15], 0
	v_mov_b32_e32 v5, v14
	v_mov_b32_e32 v20, v0
.LBB0_116:                              ;   Parent Loop BB0_3 Depth=1
                                        ; =>  This Inner Loop Header: Depth=2
	ds_read_b32 v21, v5
	v_add_u32_e32 v20, s72, v20
	v_cmp_le_i32_e32 vcc, s29, v20
	v_add_u32_e32 v5, s76, v5
	s_or_b64 s[14:15], vcc, s[14:15]
	s_waitcnt lgkmcnt(0)
	v_add_f32_e32 v4, v4, v21
	s_andn2_b64 exec, exec, s[14:15]
	s_cbranch_execnz .LBB0_116
; %bb.117:                              ;   in Loop: Header=BB0_3 Depth=1
	s_or_b64 exec, exec, s[14:15]
.LBB0_118:                              ;   in Loop: Header=BB0_3 Depth=1
	s_or_b64 exec, exec, s[4:5]
	ds_bpermute_b32 v5, v8, v4
	s_waitcnt lgkmcnt(0)
	v_add_f32_e32 v4, v4, v5
	ds_bpermute_b32 v5, v9, v4
	s_waitcnt lgkmcnt(0)
	v_add_f32_e32 v4, v4, v5
	;; [unrolled: 3-line block ×4, first 2 shown]
	ds_bpermute_b32 v5, v12, v4
	s_and_saveexec_b64 s[4:5], s[2:3]
	s_cbranch_execz .LBB0_120
; %bb.119:                              ;   in Loop: Header=BB0_3 Depth=1
	s_waitcnt lgkmcnt(0)
	v_add_f32_e32 v4, v4, v5
	ds_write_b32 v6, v4
.LBB0_120:                              ;   in Loop: Header=BB0_3 Depth=1
	s_or_b64 exec, exec, s[4:5]
	s_and_b64 vcc, exec, s[12:13]
	s_waitcnt lgkmcnt(0)
	s_barrier
	s_cbranch_vccnz .LBB0_127
; %bb.121:                              ;   in Loop: Header=BB0_3 Depth=1
	v_mov_b32_e32 v4, 0
	s_and_saveexec_b64 s[4:5], s[10:11]
; %bb.122:                              ;   in Loop: Header=BB0_3 Depth=1
	ds_read_b32 v4, v7
; %bb.123:                              ;   in Loop: Header=BB0_3 Depth=1
	s_or_b64 exec, exec, s[4:5]
	s_and_saveexec_b64 s[4:5], s[16:17]
	s_cbranch_execz .LBB0_126
; %bb.124:                              ;   in Loop: Header=BB0_3 Depth=1
	s_waitcnt lgkmcnt(0)
	ds_bpermute_b32 v5, v8, v4
	s_waitcnt lgkmcnt(0)
	v_add_f32_e32 v4, v4, v5
	ds_bpermute_b32 v5, v9, v4
	s_waitcnt lgkmcnt(0)
	v_add_f32_e32 v4, v4, v5
	;; [unrolled: 3-line block ×4, first 2 shown]
	ds_bpermute_b32 v5, v12, v4
	s_and_b64 exec, exec, s[8:9]
	s_cbranch_execz .LBB0_126
; %bb.125:                              ;   in Loop: Header=BB0_3 Depth=1
	s_waitcnt lgkmcnt(0)
	v_add_f32_e32 v4, v4, v5
	ds_write_b32 v2, v4
.LBB0_126:                              ;   in Loop: Header=BB0_3 Depth=1
	s_or_b64 exec, exec, s[4:5]
	s_waitcnt lgkmcnt(0)
	s_barrier
.LBB0_127:                              ;   in Loop: Header=BB0_3 Depth=1
	s_and_saveexec_b64 s[4:5], s[8:9]
	s_cbranch_execz .LBB0_2
; %bb.128:                              ;   in Loop: Header=BB0_3 Depth=1
	global_load_dword v4, v2, s[22:23]
	global_load_dword v5, v2, s[24:25]
	ds_read_b32 v20, v2
	s_waitcnt vmcnt(1)
	v_add_f32_e32 v3, v3, v4
	s_waitcnt vmcnt(0) lgkmcnt(0)
	v_add_f32_e32 v4, v20, v5
	global_store_dword v2, v3, s[22:23]
	global_store_dword v2, v4, s[24:25]
	s_branch .LBB0_2
.LBB0_129:
	s_endpgm
	.section	.rodata,"a",@progbits
	.p2align	6, 0x0
	.amdhsa_kernel _Z11EstepKernelPKiS0_PKbPKfbiiiiS4_S4_PfS5_S5_S5_S5_Pi
		.amdhsa_group_segment_fixed_size 128
		.amdhsa_private_segment_fixed_size 0
		.amdhsa_kernarg_size 376
		.amdhsa_user_sgpr_count 6
		.amdhsa_user_sgpr_private_segment_buffer 1
		.amdhsa_user_sgpr_dispatch_ptr 0
		.amdhsa_user_sgpr_queue_ptr 0
		.amdhsa_user_sgpr_kernarg_segment_ptr 1
		.amdhsa_user_sgpr_dispatch_id 0
		.amdhsa_user_sgpr_flat_scratch_init 0
		.amdhsa_user_sgpr_private_segment_size 0
		.amdhsa_uses_dynamic_stack 0
		.amdhsa_system_sgpr_private_segment_wavefront_offset 0
		.amdhsa_system_sgpr_workgroup_id_x 1
		.amdhsa_system_sgpr_workgroup_id_y 0
		.amdhsa_system_sgpr_workgroup_id_z 0
		.amdhsa_system_sgpr_workgroup_info 0
		.amdhsa_system_vgpr_workitem_id 0
		.amdhsa_next_free_vgpr 34
		.amdhsa_next_free_sgpr 90
		.amdhsa_reserve_vcc 1
		.amdhsa_reserve_flat_scratch 0
		.amdhsa_float_round_mode_32 0
		.amdhsa_float_round_mode_16_64 0
		.amdhsa_float_denorm_mode_32 3
		.amdhsa_float_denorm_mode_16_64 3
		.amdhsa_dx10_clamp 1
		.amdhsa_ieee_mode 1
		.amdhsa_fp16_overflow 0
		.amdhsa_exception_fp_ieee_invalid_op 0
		.amdhsa_exception_fp_denorm_src 0
		.amdhsa_exception_fp_ieee_div_zero 0
		.amdhsa_exception_fp_ieee_overflow 0
		.amdhsa_exception_fp_ieee_underflow 0
		.amdhsa_exception_fp_ieee_inexact 0
		.amdhsa_exception_int_div_zero 0
	.end_amdhsa_kernel
	.text
.Lfunc_end0:
	.size	_Z11EstepKernelPKiS0_PKbPKfbiiiiS4_S4_PfS5_S5_S5_S5_Pi, .Lfunc_end0-_Z11EstepKernelPKiS0_PKbPKfbiiiiS4_S4_PfS5_S5_S5_S5_Pi
                                        ; -- End function
	.set _Z11EstepKernelPKiS0_PKbPKfbiiiiS4_S4_PfS5_S5_S5_S5_Pi.num_vgpr, 34
	.set _Z11EstepKernelPKiS0_PKbPKfbiiiiS4_S4_PfS5_S5_S5_S5_Pi.num_agpr, 0
	.set _Z11EstepKernelPKiS0_PKbPKfbiiiiS4_S4_PfS5_S5_S5_S5_Pi.numbered_sgpr, 90
	.set _Z11EstepKernelPKiS0_PKbPKfbiiiiS4_S4_PfS5_S5_S5_S5_Pi.num_named_barrier, 0
	.set _Z11EstepKernelPKiS0_PKbPKfbiiiiS4_S4_PfS5_S5_S5_S5_Pi.private_seg_size, 0
	.set _Z11EstepKernelPKiS0_PKbPKfbiiiiS4_S4_PfS5_S5_S5_S5_Pi.uses_vcc, 1
	.set _Z11EstepKernelPKiS0_PKbPKfbiiiiS4_S4_PfS5_S5_S5_S5_Pi.uses_flat_scratch, 0
	.set _Z11EstepKernelPKiS0_PKbPKfbiiiiS4_S4_PfS5_S5_S5_S5_Pi.has_dyn_sized_stack, 0
	.set _Z11EstepKernelPKiS0_PKbPKfbiiiiS4_S4_PfS5_S5_S5_S5_Pi.has_recursion, 0
	.set _Z11EstepKernelPKiS0_PKbPKfbiiiiS4_S4_PfS5_S5_S5_S5_Pi.has_indirect_call, 0
	.section	.AMDGPU.csdata,"",@progbits
; Kernel info:
; codeLenInByte = 5368
; TotalNumSgprs: 94
; NumVgprs: 34
; ScratchSize: 0
; MemoryBound: 0
; FloatMode: 240
; IeeeMode: 1
; LDSByteSize: 128 bytes/workgroup (compile time only)
; SGPRBlocks: 11
; VGPRBlocks: 8
; NumSGPRsForWavesPerEU: 94
; NumVGPRsForWavesPerEU: 34
; Occupancy: 7
; WaveLimiterHint : 1
; COMPUTE_PGM_RSRC2:SCRATCH_EN: 0
; COMPUTE_PGM_RSRC2:USER_SGPR: 6
; COMPUTE_PGM_RSRC2:TRAP_HANDLER: 0
; COMPUTE_PGM_RSRC2:TGID_X_EN: 1
; COMPUTE_PGM_RSRC2:TGID_Y_EN: 0
; COMPUTE_PGM_RSRC2:TGID_Z_EN: 0
; COMPUTE_PGM_RSRC2:TIDIG_COMP_CNT: 0
	.section	.AMDGPU.gpr_maximums,"",@progbits
	.set amdgpu.max_num_vgpr, 0
	.set amdgpu.max_num_agpr, 0
	.set amdgpu.max_num_sgpr, 0
	.section	.AMDGPU.csdata,"",@progbits
	.type	__hip_cuid_46e8973460d3c82a,@object ; @__hip_cuid_46e8973460d3c82a
	.section	.bss,"aw",@nobits
	.globl	__hip_cuid_46e8973460d3c82a
__hip_cuid_46e8973460d3c82a:
	.byte	0                               ; 0x0
	.size	__hip_cuid_46e8973460d3c82a, 1

	.ident	"AMD clang version 22.0.0git (https://github.com/RadeonOpenCompute/llvm-project roc-7.2.4 26084 f58b06dce1f9c15707c5f808fd002e18c2accf7e)"
	.section	".note.GNU-stack","",@progbits
	.addrsig
	.addrsig_sym __hip_cuid_46e8973460d3c82a
	.amdgpu_metadata
---
amdhsa.kernels:
  - .args:
      - .actual_access:  read_only
        .address_space:  global
        .offset:         0
        .size:           8
        .value_kind:     global_buffer
      - .actual_access:  read_only
        .address_space:  global
        .offset:         8
        .size:           8
        .value_kind:     global_buffer
      - .actual_access:  read_only
        .address_space:  global
        .offset:         16
        .size:           8
        .value_kind:     global_buffer
      - .actual_access:  read_only
        .address_space:  global
        .offset:         24
        .size:           8
        .value_kind:     global_buffer
      - .offset:         32
        .size:           1
        .value_kind:     by_value
      - .offset:         36
        .size:           4
        .value_kind:     by_value
      - .offset:         40
        .size:           4
        .value_kind:     by_value
      - .offset:         44
        .size:           4
        .value_kind:     by_value
      - .offset:         48
        .size:           4
        .value_kind:     by_value
      - .actual_access:  read_only
        .address_space:  global
        .offset:         56
        .size:           8
        .value_kind:     global_buffer
      - .actual_access:  read_only
        .address_space:  global
        .offset:         64
        .size:           8
        .value_kind:     global_buffer
      - .address_space:  global
        .offset:         72
        .size:           8
        .value_kind:     global_buffer
      - .address_space:  global
        .offset:         80
        .size:           8
        .value_kind:     global_buffer
      - .address_space:  global
        .offset:         88
        .size:           8
        .value_kind:     global_buffer
      - .address_space:  global
        .offset:         96
        .size:           8
        .value_kind:     global_buffer
      - .address_space:  global
        .offset:         104
        .size:           8
        .value_kind:     global_buffer
      - .address_space:  global
        .offset:         112
        .size:           8
        .value_kind:     global_buffer
      - .offset:         120
        .size:           4
        .value_kind:     hidden_block_count_x
      - .offset:         124
        .size:           4
        .value_kind:     hidden_block_count_y
      - .offset:         128
        .size:           4
        .value_kind:     hidden_block_count_z
      - .offset:         132
        .size:           2
        .value_kind:     hidden_group_size_x
      - .offset:         134
        .size:           2
        .value_kind:     hidden_group_size_y
      - .offset:         136
        .size:           2
        .value_kind:     hidden_group_size_z
      - .offset:         138
        .size:           2
        .value_kind:     hidden_remainder_x
      - .offset:         140
        .size:           2
        .value_kind:     hidden_remainder_y
      - .offset:         142
        .size:           2
        .value_kind:     hidden_remainder_z
      - .offset:         160
        .size:           8
        .value_kind:     hidden_global_offset_x
      - .offset:         168
        .size:           8
        .value_kind:     hidden_global_offset_y
      - .offset:         176
        .size:           8
        .value_kind:     hidden_global_offset_z
      - .offset:         184
        .size:           2
        .value_kind:     hidden_grid_dims
      - .offset:         240
        .size:           4
        .value_kind:     hidden_dynamic_lds_size
    .group_segment_fixed_size: 128
    .kernarg_segment_align: 8
    .kernarg_segment_size: 376
    .language:       OpenCL C
    .language_version:
      - 2
      - 0
    .max_flat_workgroup_size: 1024
    .name:           _Z11EstepKernelPKiS0_PKbPKfbiiiiS4_S4_PfS5_S5_S5_S5_Pi
    .private_segment_fixed_size: 0
    .sgpr_count:     94
    .sgpr_spill_count: 0
    .symbol:         _Z11EstepKernelPKiS0_PKbPKfbiiiiS4_S4_PfS5_S5_S5_S5_Pi.kd
    .uniform_work_group_size: 1
    .uses_dynamic_stack: false
    .vgpr_count:     34
    .vgpr_spill_count: 0
    .wavefront_size: 64
amdhsa.target:   amdgcn-amd-amdhsa--gfx906
amdhsa.version:
  - 1
  - 2
...

	.end_amdgpu_metadata
